;; amdgpu-corpus repo=ROCm/rocFFT kind=compiled arch=gfx1030 opt=O3
	.text
	.amdgcn_target "amdgcn-amd-amdhsa--gfx1030"
	.amdhsa_code_object_version 6
	.protected	fft_rtc_back_len52_factors_13_4_wgs_64_tpt_4_halfLds_dp_ip_CI_unitstride_sbrr_R2C_dirReg ; -- Begin function fft_rtc_back_len52_factors_13_4_wgs_64_tpt_4_halfLds_dp_ip_CI_unitstride_sbrr_R2C_dirReg
	.globl	fft_rtc_back_len52_factors_13_4_wgs_64_tpt_4_halfLds_dp_ip_CI_unitstride_sbrr_R2C_dirReg
	.p2align	8
	.type	fft_rtc_back_len52_factors_13_4_wgs_64_tpt_4_halfLds_dp_ip_CI_unitstride_sbrr_R2C_dirReg,@function
fft_rtc_back_len52_factors_13_4_wgs_64_tpt_4_halfLds_dp_ip_CI_unitstride_sbrr_R2C_dirReg: ; @fft_rtc_back_len52_factors_13_4_wgs_64_tpt_4_halfLds_dp_ip_CI_unitstride_sbrr_R2C_dirReg
; %bb.0:
	s_clause 0x2
	s_load_dwordx4 s[8:11], s[4:5], 0x0
	s_load_dwordx2 s[12:13], s[4:5], 0x50
	s_load_dwordx2 s[2:3], s[4:5], 0x18
	v_lshrrev_b32_e32 v9, 2, v0
	v_mov_b32_e32 v3, 0
	v_mov_b32_e32 v1, 0
	;; [unrolled: 1-line block ×3, first 2 shown]
	v_lshl_or_b32 v5, s6, 4, v9
	v_mov_b32_e32 v6, v3
	s_waitcnt lgkmcnt(0)
	v_cmp_lt_u64_e64 s0, s[10:11], 2
	s_and_b32 vcc_lo, exec_lo, s0
	s_cbranch_vccnz .LBB0_8
; %bb.1:
	s_load_dwordx2 s[0:1], s[4:5], 0x10
	v_mov_b32_e32 v1, 0
	s_add_u32 s6, s2, 8
	v_mov_b32_e32 v2, 0
	s_addc_u32 s7, s3, 0
	s_mov_b64 s[16:17], 1
	s_waitcnt lgkmcnt(0)
	s_add_u32 s14, s0, 8
	s_addc_u32 s15, s1, 0
.LBB0_2:                                ; =>This Inner Loop Header: Depth=1
	s_load_dwordx2 s[18:19], s[14:15], 0x0
                                        ; implicit-def: $vgpr7_vgpr8
	s_mov_b32 s0, exec_lo
	s_waitcnt lgkmcnt(0)
	v_or_b32_e32 v4, s19, v6
	v_cmpx_ne_u64_e32 0, v[3:4]
	s_xor_b32 s1, exec_lo, s0
	s_cbranch_execz .LBB0_4
; %bb.3:                                ;   in Loop: Header=BB0_2 Depth=1
	v_cvt_f32_u32_e32 v4, s18
	v_cvt_f32_u32_e32 v7, s19
	s_sub_u32 s0, 0, s18
	s_subb_u32 s20, 0, s19
	v_fmac_f32_e32 v4, 0x4f800000, v7
	v_rcp_f32_e32 v4, v4
	v_mul_f32_e32 v4, 0x5f7ffffc, v4
	v_mul_f32_e32 v7, 0x2f800000, v4
	v_trunc_f32_e32 v7, v7
	v_fmac_f32_e32 v4, 0xcf800000, v7
	v_cvt_u32_f32_e32 v7, v7
	v_cvt_u32_f32_e32 v4, v4
	v_mul_lo_u32 v8, s0, v7
	v_mul_hi_u32 v10, s0, v4
	v_mul_lo_u32 v11, s20, v4
	v_add_nc_u32_e32 v8, v10, v8
	v_mul_lo_u32 v10, s0, v4
	v_add_nc_u32_e32 v8, v8, v11
	v_mul_hi_u32 v11, v4, v10
	v_mul_lo_u32 v12, v4, v8
	v_mul_hi_u32 v13, v4, v8
	v_mul_hi_u32 v14, v7, v10
	v_mul_lo_u32 v10, v7, v10
	v_mul_hi_u32 v15, v7, v8
	v_mul_lo_u32 v8, v7, v8
	v_add_co_u32 v11, vcc_lo, v11, v12
	v_add_co_ci_u32_e32 v12, vcc_lo, 0, v13, vcc_lo
	v_add_co_u32 v10, vcc_lo, v11, v10
	v_add_co_ci_u32_e32 v10, vcc_lo, v12, v14, vcc_lo
	v_add_co_ci_u32_e32 v11, vcc_lo, 0, v15, vcc_lo
	v_add_co_u32 v8, vcc_lo, v10, v8
	v_add_co_ci_u32_e32 v10, vcc_lo, 0, v11, vcc_lo
	v_add_co_u32 v4, vcc_lo, v4, v8
	v_add_co_ci_u32_e32 v7, vcc_lo, v7, v10, vcc_lo
	v_mul_hi_u32 v8, s0, v4
	v_mul_lo_u32 v11, s20, v4
	v_mul_lo_u32 v10, s0, v7
	v_add_nc_u32_e32 v8, v8, v10
	v_mul_lo_u32 v10, s0, v4
	v_add_nc_u32_e32 v8, v8, v11
	v_mul_hi_u32 v11, v4, v10
	v_mul_lo_u32 v12, v4, v8
	v_mul_hi_u32 v13, v4, v8
	v_mul_hi_u32 v14, v7, v10
	v_mul_lo_u32 v10, v7, v10
	v_mul_hi_u32 v15, v7, v8
	v_mul_lo_u32 v8, v7, v8
	v_add_co_u32 v11, vcc_lo, v11, v12
	v_add_co_ci_u32_e32 v12, vcc_lo, 0, v13, vcc_lo
	v_add_co_u32 v10, vcc_lo, v11, v10
	v_add_co_ci_u32_e32 v10, vcc_lo, v12, v14, vcc_lo
	v_add_co_ci_u32_e32 v11, vcc_lo, 0, v15, vcc_lo
	v_add_co_u32 v8, vcc_lo, v10, v8
	v_add_co_ci_u32_e32 v10, vcc_lo, 0, v11, vcc_lo
	v_add_co_u32 v4, vcc_lo, v4, v8
	v_add_co_ci_u32_e32 v12, vcc_lo, v7, v10, vcc_lo
	v_mul_hi_u32 v14, v5, v4
	v_mad_u64_u32 v[10:11], null, v6, v4, 0
	v_mad_u64_u32 v[7:8], null, v5, v12, 0
	;; [unrolled: 1-line block ×3, first 2 shown]
	v_add_co_u32 v4, vcc_lo, v14, v7
	v_add_co_ci_u32_e32 v7, vcc_lo, 0, v8, vcc_lo
	v_add_co_u32 v4, vcc_lo, v4, v10
	v_add_co_ci_u32_e32 v4, vcc_lo, v7, v11, vcc_lo
	v_add_co_ci_u32_e32 v7, vcc_lo, 0, v13, vcc_lo
	v_add_co_u32 v4, vcc_lo, v4, v12
	v_add_co_ci_u32_e32 v10, vcc_lo, 0, v7, vcc_lo
	v_mul_lo_u32 v11, s19, v4
	v_mad_u64_u32 v[7:8], null, s18, v4, 0
	v_mul_lo_u32 v12, s18, v10
	v_sub_co_u32 v7, vcc_lo, v5, v7
	v_add3_u32 v8, v8, v12, v11
	v_sub_nc_u32_e32 v11, v6, v8
	v_subrev_co_ci_u32_e64 v11, s0, s19, v11, vcc_lo
	v_add_co_u32 v12, s0, v4, 2
	v_add_co_ci_u32_e64 v13, s0, 0, v10, s0
	v_sub_co_u32 v14, s0, v7, s18
	v_sub_co_ci_u32_e32 v8, vcc_lo, v6, v8, vcc_lo
	v_subrev_co_ci_u32_e64 v11, s0, 0, v11, s0
	v_cmp_le_u32_e32 vcc_lo, s18, v14
	v_cmp_eq_u32_e64 s0, s19, v8
	v_cndmask_b32_e64 v14, 0, -1, vcc_lo
	v_cmp_le_u32_e32 vcc_lo, s19, v11
	v_cndmask_b32_e64 v15, 0, -1, vcc_lo
	v_cmp_le_u32_e32 vcc_lo, s18, v7
	;; [unrolled: 2-line block ×3, first 2 shown]
	v_cndmask_b32_e64 v16, 0, -1, vcc_lo
	v_cmp_eq_u32_e32 vcc_lo, s19, v11
	v_cndmask_b32_e64 v7, v16, v7, s0
	v_cndmask_b32_e32 v11, v15, v14, vcc_lo
	v_add_co_u32 v14, vcc_lo, v4, 1
	v_add_co_ci_u32_e32 v15, vcc_lo, 0, v10, vcc_lo
	v_cmp_ne_u32_e32 vcc_lo, 0, v11
	v_cndmask_b32_e32 v8, v15, v13, vcc_lo
	v_cndmask_b32_e32 v11, v14, v12, vcc_lo
	v_cmp_ne_u32_e32 vcc_lo, 0, v7
	v_cndmask_b32_e32 v8, v10, v8, vcc_lo
	v_cndmask_b32_e32 v7, v4, v11, vcc_lo
.LBB0_4:                                ;   in Loop: Header=BB0_2 Depth=1
	s_andn2_saveexec_b32 s0, s1
	s_cbranch_execz .LBB0_6
; %bb.5:                                ;   in Loop: Header=BB0_2 Depth=1
	v_cvt_f32_u32_e32 v4, s18
	s_sub_i32 s1, 0, s18
	v_rcp_iflag_f32_e32 v4, v4
	v_mul_f32_e32 v4, 0x4f7ffffe, v4
	v_cvt_u32_f32_e32 v4, v4
	v_mul_lo_u32 v7, s1, v4
	v_mul_hi_u32 v7, v4, v7
	v_add_nc_u32_e32 v4, v4, v7
	v_mul_hi_u32 v4, v5, v4
	v_mul_lo_u32 v7, v4, s18
	v_add_nc_u32_e32 v8, 1, v4
	v_sub_nc_u32_e32 v7, v5, v7
	v_subrev_nc_u32_e32 v10, s18, v7
	v_cmp_le_u32_e32 vcc_lo, s18, v7
	v_cndmask_b32_e32 v7, v7, v10, vcc_lo
	v_cndmask_b32_e32 v4, v4, v8, vcc_lo
	v_cmp_le_u32_e32 vcc_lo, s18, v7
	v_add_nc_u32_e32 v8, 1, v4
	v_cndmask_b32_e32 v7, v4, v8, vcc_lo
	v_mov_b32_e32 v8, v3
.LBB0_6:                                ;   in Loop: Header=BB0_2 Depth=1
	s_or_b32 exec_lo, exec_lo, s0
	s_load_dwordx2 s[0:1], s[6:7], 0x0
	v_mul_lo_u32 v4, v8, s18
	v_mul_lo_u32 v12, v7, s19
	v_mad_u64_u32 v[10:11], null, v7, s18, 0
	s_add_u32 s16, s16, 1
	s_addc_u32 s17, s17, 0
	s_add_u32 s6, s6, 8
	s_addc_u32 s7, s7, 0
	;; [unrolled: 2-line block ×3, first 2 shown]
	v_add3_u32 v4, v11, v12, v4
	v_sub_co_u32 v5, vcc_lo, v5, v10
	v_sub_co_ci_u32_e32 v4, vcc_lo, v6, v4, vcc_lo
	s_waitcnt lgkmcnt(0)
	v_mul_lo_u32 v6, s1, v5
	v_mul_lo_u32 v4, s0, v4
	v_mad_u64_u32 v[1:2], null, s0, v5, v[1:2]
	v_cmp_ge_u64_e64 s0, s[16:17], s[10:11]
	s_and_b32 vcc_lo, exec_lo, s0
	v_add3_u32 v2, v6, v2, v4
	s_cbranch_vccnz .LBB0_9
; %bb.7:                                ;   in Loop: Header=BB0_2 Depth=1
	v_mov_b32_e32 v5, v7
	v_mov_b32_e32 v6, v8
	s_branch .LBB0_2
.LBB0_8:
	v_mov_b32_e32 v8, v6
	v_mov_b32_e32 v7, v5
.LBB0_9:
	s_lshl_b64 s[0:1], s[10:11], 3
	v_and_b32_e32 v64, 3, v0
	s_add_u32 s0, s2, s0
	s_addc_u32 s1, s3, s1
	s_load_dwordx2 s[0:1], s[0:1], 0x0
	s_load_dwordx2 s[2:3], s[4:5], 0x20
	v_or_b32_e32 v69, 4, v64
	v_or_b32_e32 v68, 8, v64
	s_waitcnt lgkmcnt(0)
	v_mul_lo_u32 v3, s0, v8
	v_mul_lo_u32 v4, s1, v7
	v_mad_u64_u32 v[1:2], null, s0, v7, v[1:2]
	v_cmp_gt_u64_e32 vcc_lo, s[2:3], v[7:8]
	v_cmp_le_u64_e64 s0, s[2:3], v[7:8]
	v_add3_u32 v2, v4, v2, v3
	s_and_saveexec_b32 s1, s0
	s_xor_b32 s0, exec_lo, s1
; %bb.10:
	v_or_b32_e32 v69, 4, v64
	v_or_b32_e32 v68, 8, v64
; %bb.11:
	s_or_saveexec_b32 s1, s0
	v_mul_u32_u24_e32 v0, 53, v9
	v_lshlrev_b64 v[66:67], 4, v[1:2]
	v_lshlrev_b32_e32 v65, 4, v64
	v_lshlrev_b32_e32 v0, 4, v0
	s_xor_b32 exec_lo, exec_lo, s1
	s_cbranch_execz .LBB0_13
; %bb.12:
	v_add_co_u32 v1, s0, s12, v66
	v_add_co_ci_u32_e64 v2, s0, s13, v67, s0
	v_add3_u32 v53, 0, v0, v65
	v_add_co_u32 v49, s0, v1, v65
	v_add_co_ci_u32_e64 v50, s0, 0, v2, s0
	s_clause 0xc
	global_load_dwordx4 v[1:4], v[49:50], off
	global_load_dwordx4 v[5:8], v[49:50], off offset:64
	global_load_dwordx4 v[9:12], v[49:50], off offset:128
	;; [unrolled: 1-line block ×12, first 2 shown]
	s_waitcnt vmcnt(12)
	ds_write_b128 v53, v[1:4]
	s_waitcnt vmcnt(11)
	ds_write_b128 v53, v[5:8] offset:64
	s_waitcnt vmcnt(10)
	ds_write_b128 v53, v[9:12] offset:128
	;; [unrolled: 2-line block ×12, first 2 shown]
.LBB0_13:
	s_or_b32 exec_lo, exec_lo, s1
	v_add_nc_u32_e32 v73, 0, v0
	v_add3_u32 v74, 0, v65, v0
	s_waitcnt lgkmcnt(0)
	s_barrier
	buffer_gl0_inv
	v_add_nc_u32_e32 v72, v73, v65
	s_mov_b32 s14, 0x4267c47c
	s_mov_b32 s16, 0xe00740e9
	;; [unrolled: 1-line block ×3, first 2 shown]
	ds_read_b128 v[4:7], v74 offset:64
	ds_read_b128 v[0:3], v72
	ds_read_b128 v[24:27], v74 offset:128
	ds_read_b128 v[20:23], v74 offset:192
	s_mov_b32 s17, 0x3fec55a7
	s_mov_b32 s6, 0x42a4c3d2
	;; [unrolled: 1-line block ×18, first 2 shown]
	s_waitcnt lgkmcnt(2)
	v_add_f64 v[8:9], v[0:1], v[4:5]
	v_add_f64 v[10:11], v[2:3], v[6:7]
	s_mov_b32 s23, 0xbfd6b1d8
	s_mov_b32 s27, 0xbfe7f3cc
	;; [unrolled: 1-line block ×15, first 2 shown]
	s_waitcnt lgkmcnt(1)
	v_add_f64 v[8:9], v[8:9], v[24:25]
	v_add_f64 v[10:11], v[10:11], v[26:27]
	s_waitcnt lgkmcnt(0)
	v_add_f64 v[16:17], v[8:9], v[20:21]
	v_add_f64 v[18:19], v[10:11], v[22:23]
	ds_read_b128 v[8:11], v74 offset:256
	ds_read_b128 v[12:15], v74 offset:320
	s_waitcnt lgkmcnt(1)
	v_add_f64 v[16:17], v[16:17], v[8:9]
	v_add_f64 v[18:19], v[18:19], v[10:11]
	s_waitcnt lgkmcnt(0)
	v_add_f64 v[28:29], v[16:17], v[12:13]
	v_add_f64 v[30:31], v[18:19], v[14:15]
	ds_read_b128 v[16:19], v74 offset:384
	ds_read_b128 v[44:47], v74 offset:448
	;; [unrolled: 1-line block ×7, first 2 shown]
	s_waitcnt lgkmcnt(0)
	s_barrier
	buffer_gl0_inv
	v_add_f64 v[28:29], v[28:29], v[16:17]
	v_add_f64 v[30:31], v[30:31], v[18:19]
	v_add_f64 v[85:86], v[6:7], -v[58:59]
	v_add_f64 v[6:7], v[6:7], v[58:59]
	v_add_f64 v[52:53], v[26:27], v[62:63]
	v_add_f64 v[54:55], v[26:27], -v[62:63]
	v_add_f64 v[87:88], v[4:5], v[56:57]
	v_add_f64 v[4:5], v[4:5], -v[56:57]
	v_add_f64 v[36:37], v[22:23], v[77:78]
	v_add_f64 v[38:39], v[22:23], -v[77:78]
	v_add_f64 v[42:43], v[24:25], v[60:61]
	v_add_f64 v[40:41], v[24:25], -v[60:61]
	v_add_f64 v[34:35], v[10:11], -v[81:82]
	v_add_f64 v[32:33], v[20:21], v[75:76]
	v_add_f64 v[24:25], v[14:15], v[50:51]
	v_add_f64 v[22:23], v[12:13], -v[48:49]
	v_add_f64 v[26:27], v[14:15], -v[50:51]
	v_add_f64 v[14:15], v[18:19], v[46:47]
	v_add_f64 v[28:29], v[28:29], v[44:45]
	;; [unrolled: 1-line block ×3, first 2 shown]
	v_mul_f64 v[89:90], v[85:86], s[6:7]
	v_mul_f64 v[91:92], v[85:86], s[4:5]
	;; [unrolled: 1-line block ×13, first 2 shown]
	v_add_f64 v[70:71], v[28:29], v[48:49]
	v_add_f64 v[83:84], v[30:31], v[50:51]
	;; [unrolled: 1-line block ×3, first 2 shown]
	v_add_f64 v[28:29], v[20:21], -v[75:76]
	v_add_f64 v[20:21], v[12:13], v[48:49]
	v_add_f64 v[10:11], v[16:17], v[44:45]
	v_add_f64 v[12:13], v[16:17], -v[44:45]
	v_add_f64 v[16:17], v[18:19], -v[46:47]
	v_add_f64 v[18:19], v[8:9], v[79:80]
	v_add_f64 v[8:9], v[8:9], -v[79:80]
	v_mul_f64 v[50:51], v[54:55], s[6:7]
	v_mul_f64 v[48:49], v[52:53], s[24:25]
	;; [unrolled: 1-line block ×4, first 2 shown]
	v_fma_f64 v[123:124], v[87:88], s[24:25], v[89:90]
	v_fma_f64 v[89:90], v[87:88], s[24:25], -v[89:90]
	v_fma_f64 v[125:126], v[87:88], s[26:27], v[95:96]
	v_fma_f64 v[95:96], v[87:88], s[26:27], -v[95:96]
	v_fma_f64 v[131:132], v[4:5], s[34:35], v[97:98]
	v_fma_f64 v[97:98], v[4:5], s[2:3], v[97:98]
	v_fma_f64 v[133:134], v[4:5], s[40:41], v[99:100]
	v_fma_f64 v[99:100], v[4:5], s[10:11], v[99:100]
	v_add_f64 v[70:71], v[70:71], v[79:80]
	v_add_f64 v[81:82], v[83:84], v[81:82]
	v_mul_f64 v[79:80], v[85:86], s[14:15]
	v_mul_f64 v[83:84], v[6:7], s[16:17]
	v_fma_f64 v[139:140], v[42:43], s[22:23], v[101:102]
	v_fma_f64 v[119:120], v[42:43], s[24:25], v[50:51]
	;; [unrolled: 1-line block ×3, first 2 shown]
	v_add_f64 v[89:90], v[0:1], v[89:90]
	v_add_f64 v[125:126], v[0:1], v[125:126]
	v_add_f64 v[95:96], v[0:1], v[95:96]
	v_add_f64 v[97:98], v[2:3], v[97:98]
	v_add_f64 v[99:100], v[2:3], v[99:100]
	v_add_f64 v[70:71], v[70:71], v[75:76]
	v_add_f64 v[75:76], v[81:82], v[77:78]
	v_mul_f64 v[77:78], v[85:86], s[0:1]
	v_mul_f64 v[81:82], v[6:7], s[24:25]
	;; [unrolled: 1-line block ×4, first 2 shown]
	v_fma_f64 v[115:116], v[87:88], s[16:17], v[79:80]
	v_fma_f64 v[117:118], v[4:5], s[28:29], v[83:84]
	v_fma_f64 v[79:80], v[87:88], s[16:17], -v[79:80]
	v_fma_f64 v[83:84], v[4:5], s[14:15], v[83:84]
	v_add_f64 v[60:61], v[70:71], v[60:61]
	v_add_f64 v[62:63], v[75:76], v[62:63]
	v_fma_f64 v[70:71], v[87:88], s[18:19], v[91:92]
	v_fma_f64 v[75:76], v[87:88], s[18:19], -v[91:92]
	v_fma_f64 v[91:92], v[87:88], s[22:23], v[93:94]
	v_fma_f64 v[93:94], v[87:88], s[22:23], -v[93:94]
	v_fma_f64 v[127:128], v[4:5], s[36:37], v[81:82]
	v_fma_f64 v[129:130], v[87:88], s[20:21], v[77:78]
	;; [unrolled: 1-line block ×3, first 2 shown]
	v_fma_f64 v[77:78], v[87:88], s[20:21], -v[77:78]
	v_fma_f64 v[87:88], v[4:5], s[30:31], v[85:86]
	v_fma_f64 v[85:86], v[4:5], s[4:5], v[85:86]
	;; [unrolled: 1-line block ×4, first 2 shown]
	v_add_f64 v[79:80], v[0:1], v[79:80]
	v_add_f64 v[83:84], v[2:3], v[83:84]
	;; [unrolled: 1-line block ×3, first 2 shown]
	v_fma_f64 v[56:57], v[40:41], s[34:35], v[103:104]
	v_fma_f64 v[60:61], v[40:41], s[2:3], v[103:104]
	v_add_f64 v[103:104], v[0:1], v[115:116]
	v_add_f64 v[115:116], v[2:3], v[117:118]
	;; [unrolled: 1-line block ×3, first 2 shown]
	v_fma_f64 v[58:59], v[42:43], s[22:23], -v[101:102]
	v_fma_f64 v[62:63], v[42:43], s[20:21], v[105:106]
	v_fma_f64 v[101:102], v[40:41], s[38:39], v[107:108]
	v_add_f64 v[117:118], v[0:1], v[123:124]
	v_add_f64 v[123:124], v[2:3], v[127:128]
	;; [unrolled: 1-line block ×13, first 2 shown]
	v_mul_f64 v[77:78], v[36:37], s[22:23]
	v_fma_f64 v[105:106], v[42:43], s[20:21], -v[105:106]
	v_mul_f64 v[135:136], v[34:35], s[2:3]
	v_add_f64 v[103:104], v[119:120], v[103:104]
	v_fma_f64 v[119:120], v[32:33], s[18:19], v[46:47]
	v_add_f64 v[115:116], v[121:122], v[115:116]
	v_fma_f64 v[121:122], v[28:29], s[30:31], v[44:45]
	v_add_f64 v[85:86], v[2:3], v[85:86]
	v_add_f64 v[2:3], v[2:3], v[137:138]
	v_fma_f64 v[107:108], v[40:41], s[0:1], v[107:108]
	v_add_f64 v[117:118], v[139:140], v[117:118]
	v_mul_f64 v[137:138], v[30:31], s[22:23]
	v_add_f64 v[56:57], v[56:57], v[123:124]
	v_fma_f64 v[123:124], v[32:33], s[20:21], v[109:110]
	v_add_f64 v[58:59], v[58:59], v[89:90]
	v_fma_f64 v[89:90], v[28:29], s[38:39], v[111:112]
	v_add_f64 v[60:61], v[60:61], v[81:82]
	v_mul_f64 v[81:82], v[34:35], s[40:41]
	v_fma_f64 v[109:110], v[32:33], s[20:21], -v[109:110]
	v_fma_f64 v[111:112], v[28:29], s[0:1], v[111:112]
	v_add_f64 v[62:63], v[62:63], v[70:71]
	v_fma_f64 v[70:71], v[32:33], s[22:23], v[113:114]
	v_add_f64 v[87:88], v[101:102], v[87:88]
	;; [unrolled: 2-line block ×3, first 2 shown]
	v_mul_f64 v[105:106], v[30:31], s[26:27]
	v_add_f64 v[103:104], v[119:120], v[103:104]
	v_fma_f64 v[119:120], v[18:19], s[22:23], v[135:136]
	v_add_f64 v[115:116], v[121:122], v[115:116]
	v_mul_f64 v[121:122], v[30:31], s[16:17]
	v_fma_f64 v[113:114], v[32:33], s[22:23], -v[113:114]
	v_add_f64 v[85:86], v[107:108], v[85:86]
	v_mul_f64 v[107:108], v[34:35], s[28:29]
	v_fma_f64 v[77:78], v[28:29], s[34:35], v[77:78]
	v_add_f64 v[117:118], v[123:124], v[117:118]
	v_mul_f64 v[123:124], v[26:27], s[10:11]
	v_add_f64 v[56:57], v[89:90], v[56:57]
	v_mul_f64 v[89:90], v[24:25], s[26:27]
	v_add_f64 v[58:59], v[109:110], v[58:59]
	v_fma_f64 v[109:110], v[8:9], s[34:35], v[137:138]
	v_add_f64 v[60:61], v[111:112], v[60:61]
	v_mul_f64 v[111:112], v[26:27], s[30:31]
	v_add_f64 v[62:63], v[70:71], v[62:63]
	v_fma_f64 v[70:71], v[18:19], s[26:27], v[81:82]
	v_add_f64 v[87:88], v[101:102], v[87:88]
	v_fma_f64 v[101:102], v[8:9], s[10:11], v[105:106]
	v_fma_f64 v[81:82], v[18:19], s[26:27], -v[81:82]
	v_fma_f64 v[105:106], v[8:9], s[40:41], v[105:106]
	v_add_f64 v[103:104], v[119:120], v[103:104]
	v_fma_f64 v[119:120], v[8:9], s[14:15], v[121:122]
	v_add_f64 v[75:76], v[113:114], v[75:76]
	v_mul_f64 v[113:114], v[24:25], s[18:19]
	v_fma_f64 v[121:122], v[8:9], s[28:29], v[121:122]
	v_add_f64 v[77:78], v[77:78], v[85:86]
	v_fma_f64 v[85:86], v[18:19], s[16:17], v[107:108]
	v_fma_f64 v[107:108], v[18:19], s[16:17], -v[107:108]
	v_add_f64 v[109:110], v[109:110], v[115:116]
	v_mul_f64 v[115:116], v[16:17], s[0:1]
	v_add_f64 v[70:71], v[70:71], v[117:118]
	v_mul_f64 v[117:118], v[26:27], s[6:7]
	v_add_f64 v[56:57], v[101:102], v[56:57]
	v_fma_f64 v[101:102], v[20:21], s[26:27], v[123:124]
	v_add_f64 v[58:59], v[81:82], v[58:59]
	v_fma_f64 v[81:82], v[22:23], s[40:41], v[89:90]
	v_add_f64 v[60:61], v[105:106], v[60:61]
	v_fma_f64 v[105:106], v[20:21], s[18:19], v[111:112]
	v_add_f64 v[87:88], v[119:120], v[87:88]
	v_mul_f64 v[119:120], v[14:15], s[20:21]
	v_add_f64 v[77:78], v[121:122], v[77:78]
	v_add_f64 v[62:63], v[85:86], v[62:63]
	v_fma_f64 v[85:86], v[22:23], s[4:5], v[113:114]
	v_mul_f64 v[121:122], v[54:55], s[40:41]
	v_fma_f64 v[111:112], v[20:21], s[18:19], -v[111:112]
	v_fma_f64 v[113:114], v[22:23], s[30:31], v[113:114]
	v_add_f64 v[75:76], v[107:108], v[75:76]
	v_mul_f64 v[107:108], v[24:25], s[24:25]
	v_add_f64 v[101:102], v[101:102], v[103:104]
	v_mul_f64 v[103:104], v[52:53], s[26:27]
	v_add_f64 v[81:82], v[81:82], v[109:110]
	v_fma_f64 v[109:110], v[20:21], s[24:25], v[117:118]
	v_add_f64 v[70:71], v[105:106], v[70:71]
	v_fma_f64 v[105:106], v[10:11], s[20:21], v[115:116]
	v_fma_f64 v[139:140], v[12:13], s[38:39], v[119:120]
	v_fma_f64 v[117:118], v[20:21], s[24:25], -v[117:118]
	v_fma_f64 v[115:116], v[10:11], s[20:21], -v[115:116]
	v_add_f64 v[85:86], v[85:86], v[56:57]
	v_fma_f64 v[119:120], v[12:13], s[0:1], v[119:120]
	v_add_f64 v[111:112], v[111:112], v[58:59]
	v_add_f64 v[60:61], v[113:114], v[60:61]
	v_fma_f64 v[113:114], v[42:43], s[26:27], v[121:122]
	v_fma_f64 v[141:142], v[22:23], s[36:37], v[107:108]
	v_fma_f64 v[121:122], v[42:43], s[26:27], -v[121:122]
	v_add_f64 v[62:63], v[109:110], v[62:63]
	v_fma_f64 v[109:110], v[40:41], s[10:11], v[103:104]
	v_add_f64 v[56:57], v[105:106], v[101:102]
	v_add_f64 v[58:59], v[139:140], v[81:82]
	v_mul_f64 v[81:82], v[38:39], s[28:29]
	v_mul_f64 v[101:102], v[36:37], s[16:17]
	v_fma_f64 v[105:106], v[22:23], s[6:7], v[107:108]
	v_add_f64 v[75:76], v[117:118], v[75:76]
	v_mul_f64 v[117:118], v[34:35], s[4:5]
	v_fma_f64 v[103:104], v[40:41], s[40:41], v[103:104]
	v_add_f64 v[91:92], v[113:114], v[91:92]
	v_add_f64 v[87:88], v[141:142], v[87:88]
	;; [unrolled: 1-line block ×3, first 2 shown]
	v_mul_f64 v[121:122], v[24:25], s[20:21]
	v_add_f64 v[107:108], v[109:110], v[127:128]
	v_mul_f64 v[127:128], v[30:31], s[18:19]
	v_fma_f64 v[109:110], v[32:33], s[16:17], v[81:82]
	v_fma_f64 v[113:114], v[28:29], s[14:15], v[101:102]
	v_add_f64 v[77:78], v[105:106], v[77:78]
	v_fma_f64 v[81:82], v[32:33], s[16:17], -v[81:82]
	v_fma_f64 v[101:102], v[28:29], s[28:29], v[101:102]
	v_add_f64 v[97:98], v[103:104], v[97:98]
	v_mul_f64 v[103:104], v[54:55], s[30:31]
	v_mul_f64 v[54:55], v[54:55], s[28:29]
	v_add_f64 v[91:92], v[109:110], v[91:92]
	v_add_f64 v[105:106], v[113:114], v[107:108]
	v_fma_f64 v[107:108], v[18:19], s[18:19], v[117:118]
	v_mul_f64 v[113:114], v[26:27], s[38:39]
	v_fma_f64 v[109:110], v[8:9], s[30:31], v[127:128]
	v_add_f64 v[81:82], v[81:82], v[93:94]
	v_fma_f64 v[93:94], v[18:19], s[18:19], -v[117:118]
	v_mul_f64 v[117:118], v[52:53], s[18:19]
	v_add_f64 v[97:98], v[101:102], v[97:98]
	v_fma_f64 v[101:102], v[8:9], s[4:5], v[127:128]
	v_mul_f64 v[127:128], v[36:37], s[24:25]
	v_mul_f64 v[52:53], v[52:53], s[16:17]
	;; [unrolled: 1-line block ×3, first 2 shown]
	v_add_f64 v[91:92], v[107:108], v[91:92]
	v_fma_f64 v[107:108], v[20:21], s[20:21], v[113:114]
	v_add_f64 v[105:106], v[109:110], v[105:106]
	v_fma_f64 v[109:110], v[22:23], s[0:1], v[121:122]
	;; [unrolled: 2-line block ×3, first 2 shown]
	v_fma_f64 v[103:104], v[42:43], s[18:19], -v[103:104]
	v_add_f64 v[97:98], v[101:102], v[97:98]
	v_fma_f64 v[113:114], v[20:21], s[20:21], -v[113:114]
	v_fma_f64 v[121:122], v[22:23], s[38:39], v[121:122]
	v_add_f64 v[91:92], v[107:108], v[91:92]
	v_fma_f64 v[107:108], v[40:41], s[4:5], v[117:118]
	v_add_f64 v[105:106], v[109:110], v[105:106]
	v_mul_f64 v[109:110], v[38:39], s[6:7]
	v_add_f64 v[93:94], v[93:94], v[125:126]
	v_fma_f64 v[125:126], v[28:29], s[36:37], v[127:128]
	v_fma_f64 v[117:118], v[40:41], s[30:31], v[117:118]
	v_mul_f64 v[38:39], v[38:39], s[10:11]
	v_add_f64 v[95:96], v[103:104], v[95:96]
	v_fma_f64 v[127:128], v[28:29], s[6:7], v[127:128]
	v_add_f64 v[101:102], v[107:108], v[131:132]
	v_mul_f64 v[131:132], v[34:35], s[38:39]
	v_fma_f64 v[107:108], v[32:33], s[24:25], v[109:110]
	v_fma_f64 v[109:110], v[32:33], s[24:25], -v[109:110]
	v_mul_f64 v[34:35], v[34:35], s[36:37]
	v_add_f64 v[99:100], v[117:118], v[99:100]
	v_mul_f64 v[117:118], v[14:15], s[16:17]
	v_add_f64 v[101:102], v[125:126], v[101:102]
	v_fma_f64 v[125:126], v[42:43], s[16:17], v[54:55]
	v_fma_f64 v[54:55], v[42:43], s[16:17], -v[54:55]
	v_fma_f64 v[42:43], v[42:43], s[24:25], -v[50:51]
	v_fma_f64 v[50:51], v[40:41], s[14:15], v[52:53]
	v_fma_f64 v[52:53], v[40:41], s[28:29], v[52:53]
	v_fma_f64 v[40:41], v[40:41], s[6:7], v[48:49]
	v_mul_f64 v[48:49], v[30:31], s[20:21]
	v_add_f64 v[93:94], v[107:108], v[93:94]
	v_fma_f64 v[107:108], v[18:19], s[20:21], v[131:132]
	v_mul_f64 v[30:31], v[30:31], s[24:25]
	v_add_f64 v[99:100], v[127:128], v[99:100]
	v_add_f64 v[125:126], v[125:126], v[129:130]
	v_fma_f64 v[129:130], v[32:33], s[26:27], v[38:39]
	v_add_f64 v[0:1], v[54:55], v[0:1]
	v_add_f64 v[50:51], v[50:51], v[133:134]
	v_fma_f64 v[54:55], v[28:29], s[40:41], v[36:37]
	v_add_f64 v[2:3], v[52:53], v[2:3]
	v_fma_f64 v[103:104], v[8:9], s[0:1], v[48:49]
	v_fma_f64 v[38:39], v[32:33], s[26:27], -v[38:39]
	v_fma_f64 v[36:37], v[28:29], s[10:11], v[36:37]
	v_add_f64 v[42:43], v[42:43], v[79:80]
	v_add_f64 v[40:41], v[40:41], v[83:84]
	v_fma_f64 v[32:33], v[32:33], s[18:19], -v[46:47]
	v_fma_f64 v[28:29], v[28:29], s[4:5], v[44:45]
	v_add_f64 v[93:94], v[107:108], v[93:94]
	v_mul_f64 v[107:108], v[16:17], s[28:29]
	v_add_f64 v[83:84], v[109:110], v[95:96]
	v_fma_f64 v[95:96], v[12:13], s[14:15], v[117:118]
	v_fma_f64 v[48:49], v[8:9], s[38:39], v[48:49]
	v_mul_f64 v[46:47], v[16:17], s[10:11]
	v_mul_f64 v[44:45], v[14:15], s[26:27]
	v_cmp_ne_u32_e64 s0, 0, v64
	v_cmp_eq_u32_e64 s1, 0, v64
	v_add_f64 v[109:110], v[129:130], v[125:126]
	v_fma_f64 v[125:126], v[18:19], s[20:21], -v[131:132]
	v_mul_f64 v[129:130], v[14:15], s[24:25]
	v_add_f64 v[50:51], v[54:55], v[50:51]
	v_mul_f64 v[54:55], v[24:25], s[16:17]
	v_add_f64 v[52:53], v[103:104], v[101:102]
	v_fma_f64 v[103:104], v[12:13], s[28:29], v[117:118]
	v_mul_f64 v[117:118], v[26:27], s[28:29]
	v_add_f64 v[0:1], v[38:39], v[0:1]
	v_fma_f64 v[38:39], v[18:19], s[24:25], v[34:35]
	v_add_f64 v[2:3], v[36:37], v[2:3]
	v_fma_f64 v[36:37], v[8:9], s[6:7], v[30:31]
	v_fma_f64 v[34:35], v[18:19], s[24:25], -v[34:35]
	v_mul_f64 v[26:27], v[26:27], s[2:3]
	v_fma_f64 v[30:31], v[8:9], s[36:37], v[30:31]
	v_mul_f64 v[24:25], v[24:25], s[22:23]
	v_add_f64 v[32:33], v[32:33], v[42:43]
	v_add_f64 v[28:29], v[28:29], v[40:41]
	v_fma_f64 v[18:19], v[18:19], s[22:23], -v[135:136]
	v_fma_f64 v[8:9], v[8:9], s[2:3], v[137:138]
	v_fma_f64 v[79:80], v[10:11], s[16:17], v[107:108]
	v_fma_f64 v[101:102], v[10:11], s[16:17], -v[107:108]
	v_mul_f64 v[107:108], v[16:17], s[36:37]
	v_add_f64 v[83:84], v[125:126], v[83:84]
	v_add_f64 v[48:49], v[48:49], v[99:100]
	v_fma_f64 v[42:43], v[10:11], s[26:27], v[46:47]
	v_fma_f64 v[99:100], v[22:23], s[14:15], v[54:55]
	;; [unrolled: 1-line block ×5, first 2 shown]
	v_fma_f64 v[117:118], v[20:21], s[16:17], -v[117:118]
	v_add_f64 v[38:39], v[38:39], v[109:110]
	v_mul_f64 v[109:110], v[16:17], s[2:3]
	v_add_f64 v[36:37], v[36:37], v[50:51]
	v_mul_f64 v[50:51], v[14:15], s[22:23]
	v_add_f64 v[0:1], v[34:35], v[0:1]
	v_fma_f64 v[34:35], v[20:21], s[22:23], v[26:27]
	v_add_f64 v[2:3], v[30:31], v[2:3]
	v_fma_f64 v[30:31], v[22:23], s[34:35], v[24:25]
	v_mul_f64 v[16:17], v[16:17], s[30:31]
	v_mul_f64 v[14:15], v[14:15], s[18:19]
	v_fma_f64 v[26:27], v[20:21], s[22:23], -v[26:27]
	v_fma_f64 v[24:25], v[22:23], s[2:3], v[24:25]
	v_add_f64 v[18:19], v[18:19], v[32:33]
	v_add_f64 v[8:9], v[8:9], v[28:29]
	v_fma_f64 v[20:21], v[20:21], s[26:27], -v[123:124]
	v_fma_f64 v[22:23], v[22:23], s[10:11], v[89:90]
	v_fma_f64 v[127:128], v[12:13], s[10:11], v[44:45]
	v_fma_f64 v[44:45], v[10:11], s[24:25], v[107:108]
	v_fma_f64 v[32:33], v[12:13], s[6:7], v[129:130]
	v_fma_f64 v[89:90], v[10:11], s[24:25], -v[107:108]
	v_add_f64 v[93:94], v[125:126], v[93:94]
	v_add_f64 v[52:53], v[99:100], v[52:53]
	;; [unrolled: 1-line block ×3, first 2 shown]
	v_fma_f64 v[99:100], v[10:11], s[22:23], v[109:110]
	v_add_f64 v[48:49], v[54:55], v[48:49]
	v_fma_f64 v[107:108], v[12:13], s[34:35], v[50:51]
	v_fma_f64 v[54:55], v[10:11], s[22:23], -v[109:110]
	v_add_f64 v[38:39], v[34:35], v[38:39]
	v_fma_f64 v[46:47], v[10:11], s[26:27], -v[46:47]
	v_add_f64 v[30:31], v[30:31], v[36:37]
	v_fma_f64 v[109:110], v[10:11], s[18:19], v[16:17]
	v_fma_f64 v[113:114], v[12:13], s[4:5], v[14:15]
	v_add_f64 v[81:82], v[121:122], v[97:98]
	v_add_f64 v[83:84], v[117:118], v[83:84]
	;; [unrolled: 1-line block ×4, first 2 shown]
	v_fma_f64 v[117:118], v[10:11], s[18:19], -v[16:17]
	v_fma_f64 v[121:122], v[12:13], s[30:31], v[14:15]
	v_fma_f64 v[50:51], v[12:13], s[2:3], v[50:51]
	v_fma_f64 v[97:98], v[12:13], s[36:37], v[129:130]
	v_add_f64 v[123:124], v[20:21], v[18:19]
	v_add_f64 v[125:126], v[22:23], v[8:9]
	;; [unrolled: 1-line block ×24, first 2 shown]
	v_mad_u32_u24 v48, 0xd0, v64, v73
	v_lshl_add_u32 v76, v69, 4, v73
	ds_write_b128 v48, v[4:7]
	ds_write_b128 v48, v[56:59] offset:16
	ds_write_b128 v48, v[8:11] offset:32
	;; [unrolled: 1-line block ×12, first 2 shown]
	s_waitcnt lgkmcnt(0)
	s_barrier
	buffer_gl0_inv
	v_lshl_add_u32 v75, v68, 4, v73
	ds_read_b128 v[20:23], v72
	ds_read_b128 v[52:55], v74 offset:208
	ds_read_b128 v[44:47], v74 offset:416
	;; [unrolled: 1-line block ×3, first 2 shown]
	ds_read_b128 v[24:27], v76
	ds_read_b128 v[16:19], v75
	ds_read_b128 v[48:51], v74 offset:272
	ds_read_b128 v[32:35], v74 offset:336
	;; [unrolled: 1-line block ×6, first 2 shown]
                                        ; implicit-def: $vgpr6_vgpr7
                                        ; implicit-def: $vgpr10_vgpr11
                                        ; implicit-def: $vgpr14_vgpr15
	s_and_saveexec_b32 s2, s1
	s_cbranch_execz .LBB0_15
; %bb.14:
	ds_read_b128 v[0:3], v73 offset:192
	ds_read_b128 v[4:7], v73 offset:400
	;; [unrolled: 1-line block ×4, first 2 shown]
.LBB0_15:
	s_or_b32 exec_lo, exec_lo, s2
	v_mul_i32_i24_e32 v70, 3, v69
	v_mov_b32_e32 v71, 0
	v_mul_u32_u24_e32 v77, 3, v64
	v_lshlrev_b64 v[78:79], 4, v[70:71]
	v_mul_i32_i24_e32 v70, 3, v68
	v_lshlrev_b32_e32 v86, 4, v77
	v_lshlrev_b64 v[94:95], 4, v[70:71]
	v_add_co_u32 v98, s2, s8, v78
	v_add_co_ci_u32_e64 v99, s2, s9, v79, s2
	s_clause 0x3
	global_load_dwordx4 v[78:81], v86, s[8:9]
	global_load_dwordx4 v[82:85], v86, s[8:9] offset:16
	global_load_dwordx4 v[86:89], v86, s[8:9] offset:32
	global_load_dwordx4 v[90:93], v[98:99], off
	v_add_co_u32 v110, s2, s8, v94
	v_add_co_ci_u32_e64 v111, s2, s9, v95, s2
	s_clause 0x4
	global_load_dwordx4 v[94:97], v[98:99], off offset:16
	global_load_dwordx4 v[98:101], v[98:99], off offset:32
	global_load_dwordx4 v[102:105], v[110:111], off
	global_load_dwordx4 v[106:109], v[110:111], off offset:16
	global_load_dwordx4 v[110:113], v[110:111], off offset:32
	s_waitcnt vmcnt(0) lgkmcnt(0)
	s_barrier
	buffer_gl0_inv
	v_mul_f64 v[114:115], v[54:55], v[80:81]
	v_mul_f64 v[80:81], v[52:53], v[80:81]
	;; [unrolled: 1-line block ×18, first 2 shown]
	v_fma_f64 v[52:53], v[52:53], v[78:79], v[114:115]
	v_fma_f64 v[54:55], v[54:55], v[78:79], -v[80:81]
	v_fma_f64 v[44:45], v[44:45], v[82:83], v[116:117]
	v_fma_f64 v[46:47], v[46:47], v[82:83], -v[84:85]
	;; [unrolled: 2-line block ×9, first 2 shown]
	v_add_f64 v[44:45], v[20:21], -v[44:45]
	v_add_f64 v[46:47], v[22:23], -v[46:47]
	;; [unrolled: 1-line block ×12, first 2 shown]
	v_fma_f64 v[58:59], v[20:21], 2.0, -v[44:45]
	v_fma_f64 v[84:85], v[22:23], 2.0, -v[46:47]
	;; [unrolled: 1-line block ×8, first 2 shown]
	v_add_f64 v[20:21], v[78:79], v[30:31]
	v_fma_f64 v[88:89], v[16:17], 2.0, -v[56:57]
	v_fma_f64 v[90:91], v[18:19], 2.0, -v[82:83]
	;; [unrolled: 1-line block ×4, first 2 shown]
	v_add_f64 v[16:17], v[44:45], v[62:63]
	v_add_f64 v[18:19], v[46:47], -v[60:61]
	v_add_f64 v[30:31], v[82:83], -v[36:37]
	v_add_f64 v[24:25], v[58:59], -v[22:23]
	v_add_f64 v[26:27], v[84:85], -v[40:41]
	v_add_f64 v[22:23], v[80:81], -v[28:29]
	v_add_f64 v[28:29], v[56:57], v[38:39]
	v_add_f64 v[32:33], v[54:55], -v[42:43]
	v_add_f64 v[34:35], v[86:87], -v[48:49]
	;; [unrolled: 1-line block ×4, first 2 shown]
	v_fma_f64 v[40:41], v[44:45], 2.0, -v[16:17]
	v_fma_f64 v[42:43], v[46:47], 2.0, -v[18:19]
	;; [unrolled: 1-line block ×12, first 2 shown]
	ds_write_b128 v74, v[16:19] offset:624
	ds_write_b128 v74, v[40:43] offset:208
	;; [unrolled: 1-line block ×3, first 2 shown]
	ds_write_b128 v74, v[48:51]
	ds_write_b128 v76, v[44:47] offset:208
	ds_write_b128 v76, v[32:35] offset:416
	;; [unrolled: 1-line block ×3, first 2 shown]
	ds_write_b128 v76, v[56:59]
	ds_write_b128 v75, v[52:55] offset:208
	ds_write_b128 v75, v[36:39] offset:416
	ds_write_b128 v75, v[60:63]
	ds_write_b128 v75, v[28:31] offset:624
	s_and_saveexec_b32 s2, s1
	s_cbranch_execz .LBB0_17
; %bb.16:
	v_add_nc_u32_e32 v16, -3, v77
	v_cndmask_b32_e64 v70, v16, 36, s1
	v_lshlrev_b64 v[16:17], 4, v[70:71]
	v_add_co_u32 v24, s1, s8, v16
	v_add_co_ci_u32_e64 v25, s1, s9, v17, s1
	s_clause 0x2
	global_load_dwordx4 v[16:19], v[24:25], off offset:16
	global_load_dwordx4 v[20:23], v[24:25], off
	global_load_dwordx4 v[24:27], v[24:25], off offset:32
	s_waitcnt vmcnt(2)
	v_mul_f64 v[28:29], v[8:9], v[18:19]
	s_waitcnt vmcnt(1)
	v_mul_f64 v[30:31], v[6:7], v[22:23]
	v_mul_f64 v[22:23], v[4:5], v[22:23]
	s_waitcnt vmcnt(0)
	v_mul_f64 v[32:33], v[12:13], v[26:27]
	v_mul_f64 v[18:19], v[10:11], v[18:19]
	;; [unrolled: 1-line block ×3, first 2 shown]
	v_fma_f64 v[10:11], v[10:11], v[16:17], -v[28:29]
	v_fma_f64 v[4:5], v[4:5], v[20:21], v[30:31]
	v_fma_f64 v[6:7], v[6:7], v[20:21], -v[22:23]
	v_fma_f64 v[14:15], v[14:15], v[24:25], -v[32:33]
	v_fma_f64 v[8:9], v[8:9], v[16:17], v[18:19]
	v_fma_f64 v[12:13], v[12:13], v[24:25], v[26:27]
	v_add_f64 v[10:11], v[2:3], -v[10:11]
	v_add_f64 v[14:15], v[6:7], -v[14:15]
	;; [unrolled: 1-line block ×4, first 2 shown]
	v_fma_f64 v[16:17], v[2:3], 2.0, -v[10:11]
	v_fma_f64 v[6:7], v[6:7], 2.0, -v[14:15]
	;; [unrolled: 1-line block ×4, first 2 shown]
	v_add_f64 v[2:3], v[10:11], -v[12:13]
	v_add_f64 v[0:1], v[8:9], v[14:15]
	v_add_f64 v[6:7], v[16:17], -v[6:7]
	v_add_f64 v[4:5], v[18:19], -v[4:5]
	v_fma_f64 v[10:11], v[10:11], 2.0, -v[2:3]
	v_fma_f64 v[8:9], v[8:9], 2.0, -v[0:1]
	v_fma_f64 v[14:15], v[16:17], 2.0, -v[6:7]
	v_fma_f64 v[12:13], v[18:19], 2.0, -v[4:5]
	ds_write_b128 v73, v[8:11] offset:400
	ds_write_b128 v73, v[4:7] offset:608
	;; [unrolled: 1-line block ×4, first 2 shown]
.LBB0_17:
	s_or_b32 exec_lo, exec_lo, s2
	s_waitcnt lgkmcnt(0)
	s_barrier
	buffer_gl0_inv
	ds_read_b128 v[4:7], v72
	v_sub_nc_u32_e32 v12, v73, v65
                                        ; implicit-def: $vgpr2_vgpr3
                                        ; implicit-def: $vgpr10_vgpr11
                                        ; implicit-def: $vgpr8_vgpr9
	s_and_saveexec_b32 s1, s0
	s_xor_b32 s0, exec_lo, s1
	s_cbranch_execz .LBB0_19
; %bb.18:
	global_load_dwordx4 v[8:11], v65, s[8:9] offset:624
	ds_read_b128 v[0:3], v12 offset:832
	v_mov_b32_e32 v65, 0
                                        ; implicit-def: $vgpr73
	s_waitcnt lgkmcnt(0)
	v_add_f64 v[13:14], v[4:5], -v[0:1]
	v_add_f64 v[15:16], v[6:7], v[2:3]
	v_add_f64 v[2:3], v[6:7], -v[2:3]
	v_add_f64 v[0:1], v[4:5], v[0:1]
	v_mul_f64 v[6:7], v[13:14], 0.5
	v_mul_f64 v[4:5], v[15:16], 0.5
	;; [unrolled: 1-line block ×3, first 2 shown]
	s_waitcnt vmcnt(0)
	v_mul_f64 v[13:14], v[6:7], v[10:11]
	v_fma_f64 v[15:16], v[4:5], v[10:11], v[2:3]
	v_fma_f64 v[2:3], v[4:5], v[10:11], -v[2:3]
	v_fma_f64 v[17:18], v[0:1], 0.5, v[13:14]
	v_fma_f64 v[0:1], v[0:1], 0.5, -v[13:14]
	v_fma_f64 v[10:11], -v[8:9], v[6:7], v[15:16]
	v_fma_f64 v[2:3], -v[8:9], v[6:7], v[2:3]
	v_fma_f64 v[13:14], v[4:5], v[8:9], v[17:18]
	v_fma_f64 v[0:1], -v[4:5], v[8:9], v[0:1]
	v_mov_b32_e32 v8, v64
	v_mov_b32_e32 v9, v65
                                        ; implicit-def: $vgpr4_vgpr5
	ds_write_b64 v72, v[13:14]
.LBB0_19:
	s_andn2_saveexec_b32 s0, s0
	s_cbranch_execz .LBB0_21
; %bb.20:
	ds_read_b64 v[13:14], v73 offset:424
	s_waitcnt lgkmcnt(1)
	v_add_f64 v[15:16], v[4:5], v[6:7]
	v_add_f64 v[0:1], v[4:5], -v[6:7]
	v_mov_b32_e32 v10, 0
	v_mov_b32_e32 v11, 0
	;; [unrolled: 1-line block ×6, first 2 shown]
	s_waitcnt lgkmcnt(0)
	v_xor_b32_e32 v14, 0x80000000, v14
	ds_write_b64 v72, v[15:16]
	ds_write_b64 v73, v[13:14] offset:424
.LBB0_21:
	s_or_b32 exec_lo, exec_lo, s0
	v_mov_b32_e32 v70, 0
	ds_write_b64 v72, v[10:11] offset:8
	ds_write_b128 v12, v[0:3] offset:832
	s_waitcnt lgkmcnt(2)
	v_lshlrev_b64 v[4:5], 4, v[69:70]
	v_mov_b32_e32 v69, v70
	v_add_co_u32 v4, s0, s8, v4
	v_add_co_ci_u32_e64 v5, s0, s9, v5, s0
	global_load_dwordx4 v[13:16], v[4:5], off offset:624
	v_lshlrev_b64 v[4:5], 4, v[68:69]
	v_add_co_u32 v4, s0, s8, v4
	v_add_co_ci_u32_e64 v5, s0, s9, v5, s0
	s_add_u32 s0, s8, 0x270
	s_addc_u32 s1, s9, 0
	global_load_dwordx4 v[17:20], v[4:5], off offset:624
	v_lshlrev_b64 v[4:5], 4, v[8:9]
	ds_read_b128 v[6:9], v76
	ds_read_b128 v[21:24], v12 offset:768
	v_add_co_u32 v0, s0, s0, v4
	v_add_co_ci_u32_e64 v1, s0, s1, v5, s0
	s_mov_b32 s1, exec_lo
	global_load_dwordx4 v[25:28], v[0:1], off offset:192
	s_waitcnt lgkmcnt(0)
	v_add_f64 v[2:3], v[6:7], -v[21:22]
	v_add_f64 v[29:30], v[8:9], v[23:24]
	v_add_f64 v[23:24], v[8:9], -v[23:24]
	global_load_dwordx4 v[8:11], v[0:1], off offset:320
	v_add_f64 v[6:7], v[6:7], v[21:22]
	v_mul_f64 v[2:3], v[2:3], 0.5
	v_mul_f64 v[29:30], v[29:30], 0.5
	v_mul_f64 v[23:24], v[23:24], 0.5
	s_waitcnt vmcnt(3)
	v_mul_f64 v[21:22], v[2:3], v[15:16]
	v_fma_f64 v[31:32], v[29:30], v[15:16], v[23:24]
	v_fma_f64 v[15:16], v[29:30], v[15:16], -v[23:24]
	v_fma_f64 v[33:34], v[6:7], 0.5, v[21:22]
	v_fma_f64 v[6:7], v[6:7], 0.5, -v[21:22]
	v_fma_f64 v[23:24], -v[13:14], v[2:3], v[31:32]
	v_fma_f64 v[15:16], -v[13:14], v[2:3], v[15:16]
	v_fma_f64 v[21:22], v[29:30], v[13:14], v[33:34]
	v_fma_f64 v[13:14], -v[29:30], v[13:14], v[6:7]
	ds_write_b128 v76, v[21:24]
	ds_write_b128 v12, v[13:16] offset:768
	ds_read_b128 v[13:16], v75
	ds_read_b128 v[21:24], v12 offset:704
	global_load_dwordx4 v[29:32], v[0:1], off offset:256
	s_waitcnt lgkmcnt(0)
	v_add_f64 v[2:3], v[13:14], -v[21:22]
	v_add_f64 v[6:7], v[15:16], v[23:24]
	v_add_f64 v[15:16], v[15:16], -v[23:24]
	v_add_f64 v[13:14], v[13:14], v[21:22]
	v_mul_f64 v[2:3], v[2:3], 0.5
	v_mul_f64 v[6:7], v[6:7], 0.5
	;; [unrolled: 1-line block ×3, first 2 shown]
	s_waitcnt vmcnt(3)
	v_mul_f64 v[21:22], v[2:3], v[19:20]
	v_fma_f64 v[23:24], v[6:7], v[19:20], v[15:16]
	v_fma_f64 v[19:20], v[6:7], v[19:20], -v[15:16]
	v_fma_f64 v[33:34], v[13:14], 0.5, v[21:22]
	v_fma_f64 v[21:22], v[13:14], 0.5, -v[21:22]
	v_fma_f64 v[15:16], -v[17:18], v[2:3], v[23:24]
	v_fma_f64 v[19:20], -v[17:18], v[2:3], v[19:20]
	v_fma_f64 v[13:14], v[6:7], v[17:18], v[33:34]
	v_fma_f64 v[17:18], -v[6:7], v[17:18], v[21:22]
	ds_write_b128 v75, v[13:16]
	ds_write_b128 v12, v[17:20] offset:704
	ds_read_b128 v[13:16], v72 offset:192
	ds_read_b128 v[17:20], v12 offset:640
	s_waitcnt lgkmcnt(0)
	v_add_f64 v[2:3], v[13:14], -v[17:18]
	v_add_f64 v[6:7], v[15:16], v[19:20]
	v_add_f64 v[15:16], v[15:16], -v[19:20]
	v_add_f64 v[13:14], v[13:14], v[17:18]
	v_mul_f64 v[2:3], v[2:3], 0.5
	v_mul_f64 v[6:7], v[6:7], 0.5
	;; [unrolled: 1-line block ×3, first 2 shown]
	s_waitcnt vmcnt(2)
	v_mul_f64 v[17:18], v[2:3], v[27:28]
	v_fma_f64 v[19:20], v[6:7], v[27:28], v[15:16]
	v_fma_f64 v[21:22], v[6:7], v[27:28], -v[15:16]
	v_fma_f64 v[23:24], v[13:14], 0.5, v[17:18]
	v_fma_f64 v[17:18], v[13:14], 0.5, -v[17:18]
	v_fma_f64 v[15:16], -v[25:26], v[2:3], v[19:20]
	v_fma_f64 v[19:20], -v[25:26], v[2:3], v[21:22]
	v_fma_f64 v[13:14], v[6:7], v[25:26], v[23:24]
	v_fma_f64 v[17:18], -v[6:7], v[25:26], v[17:18]
	ds_write_b128 v72, v[13:16] offset:192
	ds_write_b128 v12, v[17:20] offset:640
	ds_read_b128 v[13:16], v72 offset:256
	ds_read_b128 v[17:20], v12 offset:576
	s_waitcnt lgkmcnt(0)
	v_add_f64 v[2:3], v[13:14], -v[17:18]
	v_add_f64 v[6:7], v[15:16], v[19:20]
	v_add_f64 v[15:16], v[15:16], -v[19:20]
	v_add_f64 v[13:14], v[13:14], v[17:18]
	v_mul_f64 v[2:3], v[2:3], 0.5
	v_mul_f64 v[6:7], v[6:7], 0.5
	v_mul_f64 v[15:16], v[15:16], 0.5
	s_waitcnt vmcnt(0)
	v_mul_f64 v[17:18], v[2:3], v[31:32]
	v_fma_f64 v[19:20], v[6:7], v[31:32], v[15:16]
	v_fma_f64 v[21:22], v[6:7], v[31:32], -v[15:16]
	v_fma_f64 v[23:24], v[13:14], 0.5, v[17:18]
	v_fma_f64 v[17:18], v[13:14], 0.5, -v[17:18]
	v_fma_f64 v[15:16], -v[29:30], v[2:3], v[19:20]
	v_fma_f64 v[19:20], -v[29:30], v[2:3], v[21:22]
	v_fma_f64 v[13:14], v[6:7], v[29:30], v[23:24]
	v_fma_f64 v[17:18], -v[6:7], v[29:30], v[17:18]
	ds_write_b128 v72, v[13:16] offset:256
	ds_write_b128 v12, v[17:20] offset:576
	ds_read_b128 v[13:16], v72 offset:320
	ds_read_b128 v[17:20], v12 offset:512
	s_waitcnt lgkmcnt(0)
	v_add_f64 v[2:3], v[13:14], -v[17:18]
	v_add_f64 v[6:7], v[15:16], v[19:20]
	v_add_f64 v[15:16], v[15:16], -v[19:20]
	v_add_f64 v[13:14], v[13:14], v[17:18]
	v_mul_f64 v[2:3], v[2:3], 0.5
	v_mul_f64 v[6:7], v[6:7], 0.5
	;; [unrolled: 1-line block ×3, first 2 shown]
	v_mul_f64 v[17:18], v[2:3], v[10:11]
	v_fma_f64 v[19:20], v[6:7], v[10:11], v[15:16]
	v_fma_f64 v[10:11], v[6:7], v[10:11], -v[15:16]
	v_fma_f64 v[21:22], v[13:14], 0.5, v[17:18]
	v_fma_f64 v[17:18], v[13:14], 0.5, -v[17:18]
	v_fma_f64 v[15:16], -v[8:9], v[2:3], v[19:20]
	v_fma_f64 v[10:11], -v[8:9], v[2:3], v[10:11]
	v_or_b32_e32 v2, 24, v64
	v_fma_f64 v[13:14], v[6:7], v[8:9], v[21:22]
	v_fma_f64 v[8:9], -v[6:7], v[8:9], v[17:18]
	ds_write_b128 v72, v[13:16] offset:320
	ds_write_b128 v12, v[8:11] offset:512
	v_cmpx_gt_u32_e32 26, v2
	s_cbranch_execz .LBB0_23
; %bb.22:
	global_load_dwordx4 v[0:3], v[0:1], off offset:384
	ds_read_b128 v[6:9], v72 offset:384
	ds_read_b128 v[13:16], v12 offset:448
	s_waitcnt lgkmcnt(0)
	v_add_f64 v[10:11], v[6:7], -v[13:14]
	v_add_f64 v[17:18], v[8:9], v[15:16]
	v_add_f64 v[8:9], v[8:9], -v[15:16]
	v_add_f64 v[6:7], v[6:7], v[13:14]
	v_mul_f64 v[10:11], v[10:11], 0.5
	v_mul_f64 v[15:16], v[17:18], 0.5
	v_mul_f64 v[8:9], v[8:9], 0.5
	s_waitcnt vmcnt(0)
	v_mul_f64 v[13:14], v[10:11], v[2:3]
	v_fma_f64 v[17:18], v[15:16], v[2:3], v[8:9]
	v_fma_f64 v[2:3], v[15:16], v[2:3], -v[8:9]
	v_fma_f64 v[19:20], v[6:7], 0.5, v[13:14]
	v_fma_f64 v[13:14], v[6:7], 0.5, -v[13:14]
	v_fma_f64 v[8:9], -v[0:1], v[10:11], v[17:18]
	v_fma_f64 v[2:3], -v[0:1], v[10:11], v[2:3]
	v_fma_f64 v[6:7], v[15:16], v[0:1], v[19:20]
	v_fma_f64 v[0:1], -v[15:16], v[0:1], v[13:14]
	ds_write_b128 v72, v[6:9] offset:384
	ds_write_b128 v12, v[0:3] offset:448
.LBB0_23:
	s_or_b32 exec_lo, exec_lo, s1
	s_waitcnt lgkmcnt(0)
	s_barrier
	buffer_gl0_inv
	s_and_saveexec_b32 s0, vcc_lo
	s_cbranch_execz .LBB0_26
; %bb.24:
	ds_read_b128 v[6:9], v72
	ds_read_b128 v[10:13], v72 offset:64
	ds_read_b128 v[14:17], v72 offset:128
	;; [unrolled: 1-line block ×12, first 2 shown]
	v_add_co_u32 v0, vcc_lo, s12, v66
	v_add_co_ci_u32_e32 v1, vcc_lo, s13, v67, vcc_lo
	v_add_co_u32 v2, vcc_lo, v0, v4
	v_add_co_ci_u32_e32 v3, vcc_lo, v1, v5, vcc_lo
	v_cmp_eq_u32_e32 vcc_lo, 3, v64
	s_waitcnt lgkmcnt(12)
	global_store_dwordx4 v[2:3], v[6:9], off
	s_waitcnt lgkmcnt(11)
	global_store_dwordx4 v[2:3], v[10:13], off offset:64
	s_waitcnt lgkmcnt(10)
	global_store_dwordx4 v[2:3], v[14:17], off offset:128
	;; [unrolled: 2-line block ×12, first 2 shown]
	s_and_b32 exec_lo, exec_lo, vcc_lo
	s_cbranch_execz .LBB0_26
; %bb.25:
	ds_read_b128 v[2:5], v72 offset:784
	s_waitcnt lgkmcnt(0)
	global_store_dwordx4 v[0:1], v[2:5], off offset:832
.LBB0_26:
	s_endpgm
	.section	.rodata,"a",@progbits
	.p2align	6, 0x0
	.amdhsa_kernel fft_rtc_back_len52_factors_13_4_wgs_64_tpt_4_halfLds_dp_ip_CI_unitstride_sbrr_R2C_dirReg
		.amdhsa_group_segment_fixed_size 0
		.amdhsa_private_segment_fixed_size 0
		.amdhsa_kernarg_size 88
		.amdhsa_user_sgpr_count 6
		.amdhsa_user_sgpr_private_segment_buffer 1
		.amdhsa_user_sgpr_dispatch_ptr 0
		.amdhsa_user_sgpr_queue_ptr 0
		.amdhsa_user_sgpr_kernarg_segment_ptr 1
		.amdhsa_user_sgpr_dispatch_id 0
		.amdhsa_user_sgpr_flat_scratch_init 0
		.amdhsa_user_sgpr_private_segment_size 0
		.amdhsa_wavefront_size32 1
		.amdhsa_uses_dynamic_stack 0
		.amdhsa_system_sgpr_private_segment_wavefront_offset 0
		.amdhsa_system_sgpr_workgroup_id_x 1
		.amdhsa_system_sgpr_workgroup_id_y 0
		.amdhsa_system_sgpr_workgroup_id_z 0
		.amdhsa_system_sgpr_workgroup_info 0
		.amdhsa_system_vgpr_workitem_id 0
		.amdhsa_next_free_vgpr 143
		.amdhsa_next_free_sgpr 42
		.amdhsa_reserve_vcc 1
		.amdhsa_reserve_flat_scratch 0
		.amdhsa_float_round_mode_32 0
		.amdhsa_float_round_mode_16_64 0
		.amdhsa_float_denorm_mode_32 3
		.amdhsa_float_denorm_mode_16_64 3
		.amdhsa_dx10_clamp 1
		.amdhsa_ieee_mode 1
		.amdhsa_fp16_overflow 0
		.amdhsa_workgroup_processor_mode 1
		.amdhsa_memory_ordered 1
		.amdhsa_forward_progress 0
		.amdhsa_shared_vgpr_count 0
		.amdhsa_exception_fp_ieee_invalid_op 0
		.amdhsa_exception_fp_denorm_src 0
		.amdhsa_exception_fp_ieee_div_zero 0
		.amdhsa_exception_fp_ieee_overflow 0
		.amdhsa_exception_fp_ieee_underflow 0
		.amdhsa_exception_fp_ieee_inexact 0
		.amdhsa_exception_int_div_zero 0
	.end_amdhsa_kernel
	.text
.Lfunc_end0:
	.size	fft_rtc_back_len52_factors_13_4_wgs_64_tpt_4_halfLds_dp_ip_CI_unitstride_sbrr_R2C_dirReg, .Lfunc_end0-fft_rtc_back_len52_factors_13_4_wgs_64_tpt_4_halfLds_dp_ip_CI_unitstride_sbrr_R2C_dirReg
                                        ; -- End function
	.section	.AMDGPU.csdata,"",@progbits
; Kernel info:
; codeLenInByte = 8592
; NumSgprs: 44
; NumVgprs: 143
; ScratchSize: 0
; MemoryBound: 0
; FloatMode: 240
; IeeeMode: 1
; LDSByteSize: 0 bytes/workgroup (compile time only)
; SGPRBlocks: 5
; VGPRBlocks: 17
; NumSGPRsForWavesPerEU: 44
; NumVGPRsForWavesPerEU: 143
; Occupancy: 7
; WaveLimiterHint : 1
; COMPUTE_PGM_RSRC2:SCRATCH_EN: 0
; COMPUTE_PGM_RSRC2:USER_SGPR: 6
; COMPUTE_PGM_RSRC2:TRAP_HANDLER: 0
; COMPUTE_PGM_RSRC2:TGID_X_EN: 1
; COMPUTE_PGM_RSRC2:TGID_Y_EN: 0
; COMPUTE_PGM_RSRC2:TGID_Z_EN: 0
; COMPUTE_PGM_RSRC2:TIDIG_COMP_CNT: 0
	.text
	.p2alignl 6, 3214868480
	.fill 48, 4, 3214868480
	.type	__hip_cuid_c7081df6fe3ba1d0,@object ; @__hip_cuid_c7081df6fe3ba1d0
	.section	.bss,"aw",@nobits
	.globl	__hip_cuid_c7081df6fe3ba1d0
__hip_cuid_c7081df6fe3ba1d0:
	.byte	0                               ; 0x0
	.size	__hip_cuid_c7081df6fe3ba1d0, 1

	.ident	"AMD clang version 19.0.0git (https://github.com/RadeonOpenCompute/llvm-project roc-6.4.0 25133 c7fe45cf4b819c5991fe208aaa96edf142730f1d)"
	.section	".note.GNU-stack","",@progbits
	.addrsig
	.addrsig_sym __hip_cuid_c7081df6fe3ba1d0
	.amdgpu_metadata
---
amdhsa.kernels:
  - .args:
      - .actual_access:  read_only
        .address_space:  global
        .offset:         0
        .size:           8
        .value_kind:     global_buffer
      - .offset:         8
        .size:           8
        .value_kind:     by_value
      - .actual_access:  read_only
        .address_space:  global
        .offset:         16
        .size:           8
        .value_kind:     global_buffer
      - .actual_access:  read_only
        .address_space:  global
        .offset:         24
        .size:           8
        .value_kind:     global_buffer
      - .offset:         32
        .size:           8
        .value_kind:     by_value
      - .actual_access:  read_only
        .address_space:  global
        .offset:         40
        .size:           8
        .value_kind:     global_buffer
      - .actual_access:  read_only
        .address_space:  global
        .offset:         48
        .size:           8
        .value_kind:     global_buffer
      - .offset:         56
        .size:           4
        .value_kind:     by_value
      - .actual_access:  read_only
        .address_space:  global
        .offset:         64
        .size:           8
        .value_kind:     global_buffer
      - .actual_access:  read_only
        .address_space:  global
        .offset:         72
        .size:           8
        .value_kind:     global_buffer
      - .address_space:  global
        .offset:         80
        .size:           8
        .value_kind:     global_buffer
    .group_segment_fixed_size: 0
    .kernarg_segment_align: 8
    .kernarg_segment_size: 88
    .language:       OpenCL C
    .language_version:
      - 2
      - 0
    .max_flat_workgroup_size: 64
    .name:           fft_rtc_back_len52_factors_13_4_wgs_64_tpt_4_halfLds_dp_ip_CI_unitstride_sbrr_R2C_dirReg
    .private_segment_fixed_size: 0
    .sgpr_count:     44
    .sgpr_spill_count: 0
    .symbol:         fft_rtc_back_len52_factors_13_4_wgs_64_tpt_4_halfLds_dp_ip_CI_unitstride_sbrr_R2C_dirReg.kd
    .uniform_work_group_size: 1
    .uses_dynamic_stack: false
    .vgpr_count:     143
    .vgpr_spill_count: 0
    .wavefront_size: 32
    .workgroup_processor_mode: 1
amdhsa.target:   amdgcn-amd-amdhsa--gfx1030
amdhsa.version:
  - 1
  - 2
...

	.end_amdgpu_metadata
